;; amdgpu-corpus repo=ROCm/rocFFT kind=compiled arch=gfx950 opt=O3
	.text
	.amdgcn_target "amdgcn-amd-amdhsa--gfx950"
	.amdhsa_code_object_version 6
	.protected	fft_rtc_back_len110_factors_2_5_11_wgs_198_tpt_11_half_ip_CI_unitstride_sbrr_C2R_dirReg ; -- Begin function fft_rtc_back_len110_factors_2_5_11_wgs_198_tpt_11_half_ip_CI_unitstride_sbrr_C2R_dirReg
	.globl	fft_rtc_back_len110_factors_2_5_11_wgs_198_tpt_11_half_ip_CI_unitstride_sbrr_C2R_dirReg
	.p2align	8
	.type	fft_rtc_back_len110_factors_2_5_11_wgs_198_tpt_11_half_ip_CI_unitstride_sbrr_C2R_dirReg,@function
fft_rtc_back_len110_factors_2_5_11_wgs_198_tpt_11_half_ip_CI_unitstride_sbrr_C2R_dirReg: ; @fft_rtc_back_len110_factors_2_5_11_wgs_198_tpt_11_half_ip_CI_unitstride_sbrr_C2R_dirReg
; %bb.0:
	s_load_dwordx2 s[8:9], s[0:1], 0x50
	s_load_dwordx4 s[4:7], s[0:1], 0x0
	s_load_dwordx2 s[10:11], s[0:1], 0x18
	v_mul_u32_u24_e32 v1, 0x1746, v0
	v_lshrrev_b32_e32 v2, 16, v1
	v_mad_u64_u32 v[2:3], s[2:3], s2, 18, v[2:3]
	v_mov_b32_e32 v6, 0
	v_mov_b32_e32 v3, v6
	s_waitcnt lgkmcnt(0)
	v_cmp_lt_u64_e64 s[2:3], s[6:7], 2
	s_and_b64 vcc, exec, s[2:3]
	v_mov_b64_e32 v[4:5], 0
	v_mov_b64_e32 v[10:11], v[2:3]
	s_cbranch_vccnz .LBB0_8
; %bb.1:
	s_load_dwordx2 s[2:3], s[0:1], 0x10
	s_add_u32 s12, s10, 8
	s_addc_u32 s13, s11, 0
	s_mov_b64 s[14:15], 1
	v_mov_b64_e32 v[4:5], 0
	s_waitcnt lgkmcnt(0)
	s_add_u32 s16, s2, 8
	s_addc_u32 s17, s3, 0
	v_mov_b64_e32 v[8:9], v[2:3]
.LBB0_2:                                ; =>This Inner Loop Header: Depth=1
	s_load_dwordx2 s[18:19], s[16:17], 0x0
                                        ; implicit-def: $vgpr10_vgpr11
	s_waitcnt lgkmcnt(0)
	v_or_b32_e32 v7, s19, v9
	v_cmp_ne_u64_e32 vcc, 0, v[6:7]
	s_and_saveexec_b64 s[2:3], vcc
	s_xor_b64 s[20:21], exec, s[2:3]
	s_cbranch_execz .LBB0_4
; %bb.3:                                ;   in Loop: Header=BB0_2 Depth=1
	v_cvt_f32_u32_e32 v1, s18
	v_cvt_f32_u32_e32 v3, s19
	s_sub_u32 s2, 0, s18
	s_subb_u32 s3, 0, s19
	v_fmac_f32_e32 v1, 0x4f800000, v3
	v_rcp_f32_e32 v1, v1
	s_nop 0
	v_mul_f32_e32 v1, 0x5f7ffffc, v1
	v_mul_f32_e32 v3, 0x2f800000, v1
	v_trunc_f32_e32 v3, v3
	v_fmac_f32_e32 v1, 0xcf800000, v3
	v_cvt_u32_f32_e32 v3, v3
	v_cvt_u32_f32_e32 v1, v1
	v_mul_lo_u32 v7, s2, v3
	v_mul_hi_u32 v10, s2, v1
	v_mul_lo_u32 v11, s3, v1
	v_add_u32_e32 v7, v10, v7
	v_mul_lo_u32 v14, s2, v1
	v_add_u32_e32 v7, v7, v11
	v_mul_hi_u32 v10, v1, v14
	v_mul_hi_u32 v13, v1, v7
	v_mul_lo_u32 v12, v1, v7
	v_mov_b32_e32 v11, v6
	v_lshl_add_u64 v[10:11], v[10:11], 0, v[12:13]
	v_mul_hi_u32 v13, v3, v14
	v_mul_lo_u32 v14, v3, v14
	v_add_co_u32_e32 v10, vcc, v10, v14
	v_mul_hi_u32 v12, v3, v7
	s_nop 0
	v_addc_co_u32_e32 v10, vcc, v11, v13, vcc
	v_mov_b32_e32 v11, v6
	s_nop 0
	v_addc_co_u32_e32 v13, vcc, 0, v12, vcc
	v_mul_lo_u32 v12, v3, v7
	v_lshl_add_u64 v[10:11], v[10:11], 0, v[12:13]
	v_add_co_u32_e32 v1, vcc, v1, v10
	v_mul_hi_u32 v10, s2, v1
	s_nop 0
	v_addc_co_u32_e32 v3, vcc, v3, v11, vcc
	v_mul_lo_u32 v7, s2, v3
	v_add_u32_e32 v7, v10, v7
	v_mul_lo_u32 v10, s3, v1
	v_add_u32_e32 v7, v7, v10
	v_mul_lo_u32 v12, s2, v1
	v_mul_hi_u32 v15, v3, v12
	v_mul_lo_u32 v16, v3, v12
	v_mul_hi_u32 v11, v1, v7
	;; [unrolled: 2-line block ×3, first 2 shown]
	v_mov_b32_e32 v13, v6
	v_lshl_add_u64 v[10:11], v[12:13], 0, v[10:11]
	v_add_co_u32_e32 v10, vcc, v10, v16
	v_mul_hi_u32 v14, v3, v7
	s_nop 0
	v_addc_co_u32_e32 v10, vcc, v11, v15, vcc
	v_mul_lo_u32 v12, v3, v7
	s_nop 0
	v_addc_co_u32_e32 v13, vcc, 0, v14, vcc
	v_mov_b32_e32 v11, v6
	v_lshl_add_u64 v[10:11], v[10:11], 0, v[12:13]
	v_add_co_u32_e32 v1, vcc, v1, v10
	v_mul_hi_u32 v12, v8, v1
	s_nop 0
	v_addc_co_u32_e32 v3, vcc, v3, v11, vcc
	v_mad_u64_u32 v[10:11], s[2:3], v8, v3, 0
	v_mov_b32_e32 v13, v6
	v_lshl_add_u64 v[10:11], v[12:13], 0, v[10:11]
	v_mad_u64_u32 v[14:15], s[2:3], v9, v1, 0
	v_add_co_u32_e32 v1, vcc, v10, v14
	v_mad_u64_u32 v[12:13], s[2:3], v9, v3, 0
	s_nop 0
	v_addc_co_u32_e32 v10, vcc, v11, v15, vcc
	v_mov_b32_e32 v11, v6
	s_nop 0
	v_addc_co_u32_e32 v13, vcc, 0, v13, vcc
	v_lshl_add_u64 v[10:11], v[10:11], 0, v[12:13]
	v_mul_lo_u32 v1, s19, v10
	v_mul_lo_u32 v3, s18, v11
	v_mad_u64_u32 v[12:13], s[2:3], s18, v10, 0
	v_add3_u32 v1, v13, v3, v1
	v_sub_u32_e32 v3, v9, v1
	v_mov_b32_e32 v7, s19
	v_sub_co_u32_e32 v16, vcc, v8, v12
	v_lshl_add_u64 v[14:15], v[10:11], 0, 1
	s_nop 0
	v_subb_co_u32_e64 v3, s[2:3], v3, v7, vcc
	v_subrev_co_u32_e64 v7, s[2:3], s18, v16
	v_subb_co_u32_e32 v1, vcc, v9, v1, vcc
	s_nop 0
	v_subbrev_co_u32_e64 v3, s[2:3], 0, v3, s[2:3]
	v_cmp_le_u32_e64 s[2:3], s19, v3
	v_cmp_le_u32_e32 vcc, s19, v1
	s_nop 0
	v_cndmask_b32_e64 v12, 0, -1, s[2:3]
	v_cmp_le_u32_e64 s[2:3], s18, v7
	s_nop 1
	v_cndmask_b32_e64 v7, 0, -1, s[2:3]
	v_cmp_eq_u32_e64 s[2:3], s19, v3
	s_nop 1
	v_cndmask_b32_e64 v3, v12, v7, s[2:3]
	v_lshl_add_u64 v[12:13], v[10:11], 0, 2
	v_cmp_ne_u32_e64 s[2:3], 0, v3
	v_cndmask_b32_e64 v7, 0, -1, vcc
	v_cmp_le_u32_e32 vcc, s18, v16
	v_cndmask_b32_e64 v3, v15, v13, s[2:3]
	s_nop 0
	v_cndmask_b32_e64 v13, 0, -1, vcc
	v_cmp_eq_u32_e32 vcc, s19, v1
	s_nop 1
	v_cndmask_b32_e32 v1, v7, v13, vcc
	v_cmp_ne_u32_e32 vcc, 0, v1
	v_cndmask_b32_e64 v1, v14, v12, s[2:3]
	s_nop 0
	v_cndmask_b32_e32 v11, v11, v3, vcc
	v_cndmask_b32_e32 v10, v10, v1, vcc
.LBB0_4:                                ;   in Loop: Header=BB0_2 Depth=1
	s_andn2_saveexec_b64 s[2:3], s[20:21]
	s_cbranch_execz .LBB0_6
; %bb.5:                                ;   in Loop: Header=BB0_2 Depth=1
	v_cvt_f32_u32_e32 v1, s18
	s_sub_i32 s20, 0, s18
	v_mov_b32_e32 v11, v6
	v_rcp_iflag_f32_e32 v1, v1
	s_nop 0
	v_mul_f32_e32 v1, 0x4f7ffffe, v1
	v_cvt_u32_f32_e32 v1, v1
	v_mul_lo_u32 v3, s20, v1
	v_mul_hi_u32 v3, v1, v3
	v_add_u32_e32 v1, v1, v3
	v_mul_hi_u32 v1, v8, v1
	v_mul_lo_u32 v3, v1, s18
	v_sub_u32_e32 v3, v8, v3
	v_add_u32_e32 v7, 1, v1
	v_subrev_u32_e32 v10, s18, v3
	v_cmp_le_u32_e32 vcc, s18, v3
	s_nop 1
	v_cndmask_b32_e32 v3, v3, v10, vcc
	v_cndmask_b32_e32 v1, v1, v7, vcc
	v_add_u32_e32 v7, 1, v1
	v_cmp_le_u32_e32 vcc, s18, v3
	s_nop 1
	v_cndmask_b32_e32 v10, v1, v7, vcc
.LBB0_6:                                ;   in Loop: Header=BB0_2 Depth=1
	s_or_b64 exec, exec, s[2:3]
	v_mad_u64_u32 v[12:13], s[2:3], v10, s18, 0
	s_load_dwordx2 s[2:3], s[12:13], 0x0
	s_add_u32 s14, s14, 1
	v_mul_lo_u32 v1, v11, s18
	v_mul_lo_u32 v3, v10, s19
	s_addc_u32 s15, s15, 0
	v_add3_u32 v1, v13, v3, v1
	v_sub_co_u32_e32 v3, vcc, v8, v12
	s_add_u32 s12, s12, 8
	s_nop 0
	v_subb_co_u32_e32 v1, vcc, v9, v1, vcc
	s_addc_u32 s13, s13, 0
	v_mov_b64_e32 v[8:9], s[6:7]
	s_waitcnt lgkmcnt(0)
	v_mul_lo_u32 v1, s2, v1
	v_mul_lo_u32 v7, s3, v3
	v_mad_u64_u32 v[4:5], s[2:3], s2, v3, v[4:5]
	s_add_u32 s16, s16, 8
	v_cmp_ge_u64_e32 vcc, s[14:15], v[8:9]
	v_add3_u32 v5, v7, v5, v1
	s_addc_u32 s17, s17, 0
	s_cbranch_vccnz .LBB0_8
; %bb.7:                                ;   in Loop: Header=BB0_2 Depth=1
	v_mov_b64_e32 v[8:9], v[10:11]
	s_branch .LBB0_2
.LBB0_8:
	s_lshl_b64 s[2:3], s[6:7], 3
	s_add_u32 s2, s10, s2
	s_addc_u32 s3, s11, s3
	s_load_dwordx2 s[6:7], s[2:3], 0x0
	s_load_dwordx2 s[10:11], s[0:1], 0x20
	s_waitcnt lgkmcnt(0)
	v_mad_u64_u32 v[6:7], s[0:1], s6, v10, v[4:5]
	v_mul_lo_u32 v1, s6, v11
	v_mul_lo_u32 v3, s7, v10
	s_mov_b32 s0, 0x38e38e39
	v_add3_u32 v7, v3, v7, v1
	v_mul_hi_u32 v1, v2, s0
	v_lshrrev_b32_e32 v1, 2, v1
	v_mul_lo_u32 v1, v1, 18
	v_sub_u32_e32 v1, v2, v1
	s_mov_b32 s0, 0x1745d175
	v_mul_u32_u24_e32 v4, 0x6f, v1
	v_mul_hi_u32 v1, v0, s0
	v_mul_u32_u24_e32 v1, 11, v1
	v_cmp_gt_u64_e32 vcc, s[10:11], v[10:11]
	v_sub_u32_e32 v2, v0, v1
	v_lshl_add_u64 v[0:1], v[6:7], 2, s[8:9]
	v_lshlrev_b32_e32 v9, 2, v4
	s_and_saveexec_b64 s[2:3], vcc
	s_cbranch_execz .LBB0_12
; %bb.9:
	v_mov_b32_e32 v3, 0
	v_lshl_add_u64 v[6:7], v[2:3], 2, v[0:1]
	global_load_dword v5, v[6:7], off
	global_load_dword v8, v[6:7], off offset:44
	global_load_dword v10, v[6:7], off offset:88
	;; [unrolled: 1-line block ×9, first 2 shown]
	v_lshlrev_b32_e32 v3, 2, v2
	v_add3_u32 v3, 0, v9, v3
	v_cmp_eq_u32_e64 s[0:1], 10, v2
	s_waitcnt vmcnt(8)
	ds_write2_b32 v3, v5, v8 offset1:11
	s_waitcnt vmcnt(6)
	ds_write2_b32 v3, v10, v11 offset0:22 offset1:33
	s_waitcnt vmcnt(4)
	ds_write2_b32 v3, v12, v13 offset0:44 offset1:55
	;; [unrolled: 2-line block ×4, first 2 shown]
	s_and_saveexec_b64 s[6:7], s[0:1]
	s_cbranch_execz .LBB0_11
; %bb.10:
	global_load_dword v2, v[0:1], off offset:440
	s_waitcnt vmcnt(0)
	ds_write_b32 v3, v2 offset:400
	v_mov_b32_e32 v2, 10
.LBB0_11:
	s_or_b64 exec, exec, s[6:7]
.LBB0_12:
	s_or_b64 exec, exec, s[2:3]
	v_lshl_add_u32 v14, v4, 2, 0
	v_lshlrev_b32_e32 v7, 2, v2
	v_add_u32_e32 v15, v14, v7
	s_waitcnt lgkmcnt(0)
	s_barrier
	v_sub_u32_e32 v6, v14, v7
	ds_read_u16 v11, v15
	ds_read_u16 v12, v6 offset:440
	v_cmp_ne_u32_e64 s[0:1], 0, v2
                                        ; implicit-def: $vgpr4_vgpr5
	s_waitcnt lgkmcnt(0)
	v_add_f16_e32 v8, v12, v11
	v_sub_f16_e32 v10, v11, v12
	s_and_saveexec_b64 s[2:3], s[0:1]
	s_xor_b64 s[0:1], exec, s[2:3]
	s_cbranch_execz .LBB0_14
; %bb.13:
	v_mov_b32_e32 v3, 0
	v_lshl_add_u64 v[4:5], v[2:3], 2, s[4:5]
	global_load_dword v4, v[4:5], off offset:432
	ds_read_u16 v5, v6 offset:442
	ds_read_u16 v8, v15 offset:2
	v_add_f16_e32 v10, v12, v11
	v_sub_f16_e32 v11, v11, v12
	s_waitcnt lgkmcnt(0)
	v_add_f16_e32 v12, v5, v8
	v_sub_f16_e32 v5, v8, v5
	s_waitcnt vmcnt(0)
	v_lshrrev_b32_e32 v8, 16, v4
	v_fma_f16 v13, v11, v8, v10
	v_fma_f16 v16, v12, v8, v5
	v_fma_f16 v17, -v11, v8, v10
	v_fma_f16 v5, v12, v8, -v5
	v_fma_f16 v8, -v4, v12, v13
	v_fma_f16 v10, v11, v4, v16
	v_fma_f16 v12, v4, v12, v17
	;; [unrolled: 1-line block ×3, first 2 shown]
	v_pack_b32_f16 v4, v12, v4
	ds_write_b32 v6, v4 offset:440
	v_mov_b64_e32 v[4:5], v[2:3]
.LBB0_14:
	s_andn2_saveexec_b64 s[0:1], s[0:1]
	s_cbranch_execz .LBB0_16
; %bb.15:
	ds_read_b32 v3, v14 offset:220
	s_mov_b32 s2, 0xc0004000
	v_mov_b64_e32 v[4:5], 0
	s_waitcnt lgkmcnt(0)
	v_pk_mul_f16 v3, v3, s2
	ds_write_b32 v14, v3 offset:220
.LBB0_16:
	s_or_b64 exec, exec, s[0:1]
	s_add_u32 s0, s4, 0x1b0
	s_addc_u32 s1, s5, 0
	v_lshl_add_u64 v[4:5], v[4:5], 2, s[0:1]
	global_load_dword v3, v[4:5], off offset:44
	global_load_dword v11, v[4:5], off offset:88
	;; [unrolled: 1-line block ×4, first 2 shown]
	s_mov_b32 s0, 0x5040100
	v_perm_b32 v4, v10, v8, s0
	ds_write_b32 v15, v4
	ds_read_b32 v4, v15 offset:44
	ds_read_b32 v5, v6 offset:396
	v_add_u32_e32 v27, 11, v2
	v_and_b32_e32 v24, 1, v2
	v_and_b32_e32 v28, 1, v27
	s_mov_b32 s2, 0x7060302
	s_waitcnt lgkmcnt(0)
	v_add_f16_e32 v8, v4, v5
	v_add_f16_sdwa v10, v5, v4 dst_sel:DWORD dst_unused:UNUSED_PAD src0_sel:WORD_1 src1_sel:WORD_1
	v_sub_f16_e32 v16, v4, v5
	v_sub_f16_sdwa v4, v4, v5 dst_sel:DWORD dst_unused:UNUSED_PAD src0_sel:WORD_1 src1_sel:WORD_1
	s_mov_b32 s1, 0xbb9c
	s_movk_i32 s3, 0x3b9c
	s_movk_i32 s6, 0x38b4
	s_mov_b32 s7, 0xffff
	s_waitcnt vmcnt(3)
	v_lshrrev_b32_e32 v5, 16, v3
	v_fma_f16 v17, v16, v5, v8
	v_fma_f16 v18, v10, v5, v4
	v_fma_f16 v8, -v16, v5, v8
	v_fma_f16 v4, v10, v5, -v4
	v_fma_f16 v5, -v3, v10, v17
	v_fma_f16 v17, v16, v3, v18
	v_fma_f16 v8, v3, v10, v8
	;; [unrolled: 1-line block ×3, first 2 shown]
	v_pack_b32_f16 v4, v5, v17
	v_pack_b32_f16 v3, v8, v3
	ds_write_b32 v15, v4 offset:44
	ds_write_b32 v6, v3 offset:396
	ds_read_b32 v3, v15 offset:88
	ds_read_b32 v4, v6 offset:352
	s_waitcnt vmcnt(2)
	v_lshrrev_b32_e32 v5, 16, v11
	s_waitcnt lgkmcnt(0)
	v_add_f16_e32 v8, v3, v4
	v_add_f16_sdwa v10, v4, v3 dst_sel:DWORD dst_unused:UNUSED_PAD src0_sel:WORD_1 src1_sel:WORD_1
	v_sub_f16_e32 v16, v3, v4
	v_sub_f16_sdwa v3, v3, v4 dst_sel:DWORD dst_unused:UNUSED_PAD src0_sel:WORD_1 src1_sel:WORD_1
	v_fma_f16 v4, v16, v5, v8
	v_fma_f16 v17, v10, v5, v3
	v_fma_f16 v8, -v16, v5, v8
	v_fma_f16 v3, v10, v5, -v3
	v_fma_f16 v4, -v11, v10, v4
	v_fma_f16 v5, v16, v11, v17
	v_fma_f16 v8, v11, v10, v8
	v_fma_f16 v3, v16, v11, v3
	v_pack_b32_f16 v4, v4, v5
	v_pack_b32_f16 v3, v8, v3
	ds_write_b32 v15, v4 offset:88
	ds_write_b32 v6, v3 offset:352
	ds_read_b32 v4, v15 offset:132
	ds_read_b32 v5, v6 offset:308
	v_add3_u32 v3, 0, v7, v9
	v_add_u32_e32 v16, v3, v7
	s_waitcnt vmcnt(1)
	v_lshrrev_b32_e32 v7, 16, v12
	v_lshlrev_b32_e32 v8, 3, v2
	s_waitcnt lgkmcnt(0)
	v_add_f16_e32 v10, v4, v5
	v_add_f16_sdwa v11, v5, v4 dst_sel:DWORD dst_unused:UNUSED_PAD src0_sel:WORD_1 src1_sel:WORD_1
	v_sub_f16_e32 v17, v4, v5
	v_sub_f16_sdwa v4, v4, v5 dst_sel:DWORD dst_unused:UNUSED_PAD src0_sel:WORD_1 src1_sel:WORD_1
	v_fma_f16 v5, v17, v7, v10
	v_fma_f16 v18, v11, v7, v4
	v_fma_f16 v10, -v17, v7, v10
	v_fma_f16 v4, v11, v7, -v4
	v_fma_f16 v5, -v12, v11, v5
	v_fma_f16 v7, v17, v12, v18
	v_fma_f16 v10, v12, v11, v10
	;; [unrolled: 1-line block ×3, first 2 shown]
	v_pack_b32_f16 v5, v5, v7
	v_pack_b32_f16 v4, v10, v4
	ds_write_b32 v15, v5 offset:132
	ds_write_b32 v6, v4 offset:308
	ds_read_b32 v4, v15 offset:176
	ds_read_b32 v5, v6 offset:264
	v_lshlrev_b32_e32 v7, 3, v27
	v_add3_u32 v17, 0, v7, v9
	s_waitcnt vmcnt(0)
	v_lshrrev_b32_e32 v7, 16, v13
	v_add3_u32 v8, v8, 0, v9
	s_waitcnt lgkmcnt(0)
	v_add_f16_e32 v10, v4, v5
	v_add_f16_sdwa v11, v5, v4 dst_sel:DWORD dst_unused:UNUSED_PAD src0_sel:WORD_1 src1_sel:WORD_1
	v_sub_f16_e32 v12, v4, v5
	v_sub_f16_sdwa v4, v4, v5 dst_sel:DWORD dst_unused:UNUSED_PAD src0_sel:WORD_1 src1_sel:WORD_1
	v_fma_f16 v5, v12, v7, v10
	v_fma_f16 v18, v11, v7, v4
	v_fma_f16 v10, -v12, v7, v10
	v_fma_f16 v4, v11, v7, -v4
	v_fma_f16 v5, -v13, v11, v5
	v_fma_f16 v7, v12, v13, v18
	v_fma_f16 v10, v13, v11, v10
	;; [unrolled: 1-line block ×3, first 2 shown]
	v_pack_b32_f16 v5, v5, v7
	v_pack_b32_f16 v4, v10, v4
	ds_write_b32 v15, v5 offset:176
	ds_write_b32 v6, v4 offset:264
	s_waitcnt lgkmcnt(0)
	s_barrier
	s_barrier
	ds_read2_b32 v[4:5], v3 offset0:55 offset1:66
	ds_read2_b32 v[6:7], v3 offset0:11 offset1:22
	;; [unrolled: 1-line block ×4, first 2 shown]
	ds_read_b32 v18, v15
	ds_read_b32 v19, v3 offset:396
	s_waitcnt lgkmcnt(4)
	v_pk_add_f16 v5, v6, v5 neg_lo:[0,1] neg_hi:[0,1]
	s_waitcnt lgkmcnt(3)
	v_pk_add_f16 v10, v7, v10 neg_lo:[0,1] neg_hi:[0,1]
	;; [unrolled: 2-line block ×5, first 2 shown]
	v_pk_fma_f16 v18, v18, 2.0, v4 op_sel_hi:[1,0,1] neg_lo:[0,0,1] neg_hi:[0,0,1]
	s_barrier
	v_pk_fma_f16 v6, v6, 2.0, v5 op_sel_hi:[1,0,1] neg_lo:[0,0,1] neg_hi:[0,0,1]
	v_pk_fma_f16 v7, v7, 2.0, v10 op_sel_hi:[1,0,1] neg_lo:[0,0,1] neg_hi:[0,0,1]
	;; [unrolled: 1-line block ×4, first 2 shown]
	ds_write2_b32 v16, v18, v4 offset1:1
	ds_write2_b32 v17, v6, v5 offset1:1
	ds_write2_b32 v8, v7, v10 offset0:44 offset1:45
	ds_write2_b32 v16, v12, v11 offset0:66 offset1:67
	;; [unrolled: 1-line block ×3, first 2 shown]
	v_lshlrev_b32_e32 v4, 4, v24
	s_waitcnt lgkmcnt(0)
	s_barrier
	global_load_dwordx4 v[4:7], v4, s[4:5]
	v_lshlrev_b32_e32 v8, 4, v28
	global_load_dwordx4 v[10:13], v8, s[4:5]
	ds_read2_b32 v[16:17], v3 offset0:11 offset1:22
	ds_read2_b32 v[18:19], v3 offset0:33 offset1:44
	;; [unrolled: 1-line block ×4, first 2 shown]
	ds_read_b32 v8, v3 offset:396
	ds_read_u16 v25, v3 offset:134
	ds_read_b32 v26, v15
	s_waitcnt lgkmcnt(4)
	v_lshrrev_b32_e32 v30, 16, v20
	s_waitcnt lgkmcnt(3)
	v_lshrrev_b32_e32 v31, 16, v22
	v_perm_b32 v33, v19, v17, s0
	v_perm_b32 v35, v23, v21, s0
	s_waitcnt lgkmcnt(2)
	v_lshrrev_b32_e32 v32, 16, v8
	v_perm_b32 v34, v19, v17, s2
	v_perm_b32 v36, v23, v21, s2
	v_lshrrev_b32_e32 v29, 16, v16
	s_waitcnt lgkmcnt(0)
	s_barrier
	s_waitcnt vmcnt(1)
	v_mul_f16_sdwa v37, v4, v17 dst_sel:DWORD dst_unused:UNUSED_PAD src0_sel:WORD_1 src1_sel:WORD_1
	v_mul_f16_sdwa v38, v5, v19 dst_sel:DWORD dst_unused:UNUSED_PAD src0_sel:WORD_1 src1_sel:WORD_1
	v_perm_b32 v40, v5, v4, s2
	v_mul_f16_sdwa v41, v6, v21 dst_sel:DWORD dst_unused:UNUSED_PAD src0_sel:WORD_1 src1_sel:WORD_1
	v_mul_f16_sdwa v42, v7, v23 dst_sel:DWORD dst_unused:UNUSED_PAD src0_sel:WORD_1 src1_sel:WORD_1
	v_perm_b32 v44, v7, v6, s2
	v_perm_b32 v39, v5, v4, s0
	;; [unrolled: 1-line block ×3, first 2 shown]
	s_waitcnt vmcnt(0)
	v_mul_f16_sdwa v45, v25, v10 dst_sel:DWORD dst_unused:UNUSED_PAD src0_sel:DWORD src1_sel:WORD_1
	v_mul_f16_sdwa v46, v10, v18 dst_sel:DWORD dst_unused:UNUSED_PAD src0_sel:WORD_1 src1_sel:DWORD
	v_mul_f16_sdwa v47, v30, v11 dst_sel:DWORD dst_unused:UNUSED_PAD src0_sel:DWORD src1_sel:WORD_1
	v_mul_f16_sdwa v48, v20, v11 dst_sel:DWORD dst_unused:UNUSED_PAD src0_sel:DWORD src1_sel:WORD_1
	;; [unrolled: 1-line block ×3, first 2 shown]
	v_fma_f16 v17, v4, v17, v37
	v_fma_f16 v37, v5, v19, v38
	v_pk_mul_f16 v4, v40, v33
	v_fma_f16 v33, v6, v21, v41
	v_fma_f16 v23, v7, v23, v42
	v_pk_mul_f16 v5, v44, v35
	v_mul_f16_sdwa v51, v32, v13 dst_sel:DWORD dst_unused:UNUSED_PAD src0_sel:DWORD src1_sel:WORD_1
	v_mul_f16_sdwa v52, v8, v13 dst_sel:DWORD dst_unused:UNUSED_PAD src0_sel:DWORD src1_sel:WORD_1
	v_fma_f16 v19, v10, v18, v45
	v_fma_f16 v10, v25, v10, -v46
	v_fma_f16 v20, v20, v11, v47
	v_fma_f16 v11, v30, v11, -v48
	v_fma_f16 v21, v22, v12, v49
	v_pk_fma_f16 v25, v39, v34, v4 neg_lo:[0,0,1] neg_hi:[0,0,1]
	v_pk_fma_f16 v30, v43, v36, v5 neg_lo:[0,0,1] neg_hi:[0,0,1]
	v_sub_f16_e32 v6, v37, v17
	v_sub_f16_e32 v7, v33, v23
	v_mul_f16_sdwa v50, v22, v12 dst_sel:DWORD dst_unused:UNUSED_PAD src0_sel:DWORD src1_sel:WORD_1
	v_fma_f16 v22, v8, v13, v51
	v_fma_f16 v13, v32, v13, -v52
	v_sub_f16_e32 v4, v17, v37
	v_sub_f16_e32 v5, v23, v33
	v_add_f16_e32 v18, v20, v21
	v_add_f16_e32 v42, v6, v7
	v_sub_f16_sdwa v6, v30, v30 dst_sel:DWORD dst_unused:UNUSED_PAD src0_sel:DWORD src1_sel:WORD_1
	v_sub_f16_sdwa v7, v25, v25 dst_sel:DWORD dst_unused:UNUSED_PAD src0_sel:WORD_1 src1_sel:DWORD
	v_fma_f16 v12, v31, v12, -v50
	v_sub_f16_e32 v36, v10, v13
	v_add_f16_e32 v41, v4, v5
	v_sub_f16_sdwa v4, v30, v30 dst_sel:DWORD dst_unused:UNUSED_PAD src0_sel:WORD_1 src1_sel:DWORD
	v_sub_f16_sdwa v5, v25, v25 dst_sel:DWORD dst_unused:UNUSED_PAD src0_sel:DWORD src1_sel:WORD_1
	v_fma_f16 v18, v18, -0.5, v16
	v_add_f16_e32 v46, v7, v6
	v_sub_f16_e32 v6, v19, v20
	v_sub_f16_e32 v7, v22, v21
	v_add_f16_e32 v8, v16, v19
	v_sub_f16_e32 v38, v11, v12
	v_add_f16_e32 v45, v5, v4
	v_fma_f16 v5, v36, s1, v18
	s_mov_b32 s0, 0xb8b4
	v_add_f16_e32 v6, v6, v7
	v_fma_f16 v7, v36, s3, v18
	v_add_f16_e32 v8, v8, v20
	v_fma_f16 v5, v38, s0, v5
	s_movk_i32 s2, 0x34f2
	v_fma_f16 v7, v38, s6, v7
	v_add_f16_e32 v4, v8, v21
	v_fma_f16 v5, v6, s2, v5
	v_fma_f16 v8, v6, s2, v7
	v_add_f16_e32 v6, v19, v22
	v_fma_f16 v7, v6, -0.5, v16
	v_fma_f16 v6, v38, s3, v7
	v_sub_f16_e32 v16, v20, v19
	v_sub_f16_e32 v18, v21, v22
	v_fma_f16 v7, v38, s1, v7
	v_fma_f16 v6, v36, s0, v6
	v_add_f16_e32 v16, v16, v18
	v_fma_f16 v7, v36, s6, v7
	v_fma_f16 v6, v16, s2, v6
	;; [unrolled: 1-line block ×3, first 2 shown]
	v_add_f16_e32 v16, v29, v10
	v_add_f16_e32 v16, v16, v11
	;; [unrolled: 1-line block ×5, first 2 shown]
	v_fma_f16 v16, v16, -0.5, v29
	v_sub_f16_e32 v36, v19, v22
	v_add_f16_e32 v4, v4, v22
	v_fma_f16 v19, v36, s3, v16
	v_sub_f16_e32 v20, v20, v21
	v_sub_f16_e32 v21, v10, v11
	;; [unrolled: 1-line block ×3, first 2 shown]
	v_fma_f16 v16, v36, s1, v16
	v_fma_f16 v19, v20, s6, v19
	v_add_f16_e32 v22, v21, v22
	v_fma_f16 v16, v20, s0, v16
	v_fma_f16 v21, v22, s2, v19
	;; [unrolled: 1-line block ×3, first 2 shown]
	v_add_f16_e32 v16, v10, v13
	v_fma_f16 v16, v16, -0.5, v29
	v_sub_f16_e32 v10, v11, v10
	v_sub_f16_e32 v11, v12, v13
	v_fma_f16 v22, v20, s1, v16
	v_add_f16_e32 v10, v10, v11
	v_fma_f16 v11, v20, s3, v16
	v_fma_f16 v22, v36, s6, v22
	;; [unrolled: 1-line block ×3, first 2 shown]
	v_pack_b32_f16 v16, v17, v25
	v_add_f16_e32 v32, v17, v23
	v_sub_f16_e32 v34, v17, v23
	v_fma_f16 v22, v10, s2, v22
	v_fma_f16 v20, v10, s2, v11
	v_lshrrev_b32_e32 v10, 1, v2
	v_pk_add_f16 v16, v26, v16
	v_bfi_b32 v17, s7, v37, v25
	v_mul_u32_u24_e32 v10, 10, v10
	v_pk_add_f16 v16, v16, v17
	v_pack_b32_f16 v17, v33, v30
	v_add_f16_e32 v31, v37, v33
	v_or_b32_e32 v10, v10, v24
	v_pk_add_f16 v16, v16, v17
	v_bfi_b32 v17, s7, v23, v30
	v_sub_f16_sdwa v39, v25, v30 dst_sel:DWORD dst_unused:UNUSED_PAD src0_sel:DWORD src1_sel:WORD_1
	v_add_f16_sdwa v43, v25, v30 dst_sel:DWORD dst_unused:UNUSED_PAD src0_sel:WORD_1 src1_sel:DWORD
	v_lshlrev_b32_e32 v10, 2, v10
	v_fma_f16 v11, v31, -0.5, v26
	v_pk_add_f16 v16, v16, v17
	v_lshrrev_b32_e32 v17, 16, v26
	v_sub_f16_sdwa v40, v25, v30 dst_sel:DWORD dst_unused:UNUSED_PAD src0_sel:WORD_1 src1_sel:DWORD
	v_add_f16_sdwa v44, v25, v30 dst_sel:DWORD dst_unused:UNUSED_PAD src0_sel:DWORD src1_sel:WORD_1
	v_add3_u32 v29, 0, v10, v9
	v_fma_f16 v10, v39, s1, v11
	v_fma_f16 v11, v39, s3, v11
	v_fma_f16 v23, v43, -0.5, v17
	v_sub_f16_e32 v35, v37, v33
	v_fma_f16 v11, v40, s6, v11
	v_fma_f16 v12, v32, -0.5, v26
	v_fma_f16 v24, v34, s3, v23
	v_fma_f16 v17, v44, -0.5, v17
	v_fma_f16 v10, v40, s0, v10
	v_fma_f16 v13, v41, s2, v11
	;; [unrolled: 1-line block ×19, first 2 shown]
	v_pack_b32_f16 v17, v10, v24
	v_fma_f16 v23, v45, s2, v23
	ds_write2_b32 v29, v16, v17 offset1:2
	v_pack_b32_f16 v17, v11, v25
	v_pack_b32_f16 v30, v12, v26
	ds_write2_b32 v29, v17, v30 offset0:4 offset1:6
	v_pack_b32_f16 v17, v13, v23
	ds_write_b32 v29, v17 offset:32
	v_lshrrev_b32_e32 v17, 1, v27
	v_mul_u32_u24_e32 v17, 10, v17
	v_or_b32_e32 v17, v17, v28
	v_lshlrev_b32_e32 v17, 2, v17
	v_add3_u32 v9, 0, v17, v9
	v_pack_b32_f16 v17, v4, v18
	v_pack_b32_f16 v27, v5, v21
	ds_write2_b32 v9, v17, v27 offset1:2
	v_pack_b32_f16 v17, v6, v22
	v_pack_b32_f16 v27, v7, v20
	ds_write2_b32 v9, v17, v27 offset0:4 offset1:6
	v_pack_b32_f16 v17, v8, v19
	ds_write_b32 v9, v17 offset:32
	v_cmp_gt_u32_e64 s[0:1], 10, v2
	v_lshrrev_b32_e32 v17, 16, v16
	s_waitcnt lgkmcnt(0)
	s_barrier
	s_waitcnt lgkmcnt(0)
                                        ; implicit-def: $vgpr27
	s_and_saveexec_b64 s[2:3], s[0:1]
	s_cbranch_execz .LBB0_18
; %bb.17:
	ds_read_b32 v16, v15
	ds_read2_b32 v[10:11], v3 offset0:10 offset1:20
	ds_read2_b32 v[6:7], v3 offset0:70 offset1:80
	ds_read2_b32 v[8:9], v3 offset0:90 offset1:100
	ds_read2_b32 v[12:13], v3 offset0:30 offset1:40
	ds_read2_b32 v[4:5], v3 offset0:50 offset1:60
	s_waitcnt lgkmcnt(5)
	v_lshrrev_b32_e32 v17, 16, v16
	s_waitcnt lgkmcnt(3)
	v_lshrrev_b32_e32 v20, 16, v7
	;; [unrolled: 2-line block ×3, first 2 shown]
	v_lshrrev_b32_e32 v27, 16, v9
	v_lshrrev_b32_e32 v24, 16, v10
	;; [unrolled: 1-line block ×3, first 2 shown]
	s_waitcnt lgkmcnt(1)
	v_lshrrev_b32_e32 v26, 16, v12
	v_lshrrev_b32_e32 v23, 16, v13
	s_waitcnt lgkmcnt(0)
	v_lshrrev_b32_e32 v18, 16, v4
	v_lshrrev_b32_e32 v21, 16, v5
	;; [unrolled: 1-line block ×3, first 2 shown]
.LBB0_18:
	s_or_b64 exec, exec, s[2:3]
	s_barrier
	s_and_saveexec_b64 s[2:3], s[0:1]
	s_cbranch_execz .LBB0_20
; %bb.19:
	v_add_u32_e32 v28, -10, v2
	v_cndmask_b32_e64 v28, v28, v2, s[0:1]
	v_mul_i32_i24_e32 v28, 10, v28
	v_mov_b32_e32 v29, 0
	v_lshl_add_u64 v[36:37], v[28:29], 2, s[4:5]
	global_load_dwordx4 v[28:31], v[36:37], off offset:32
	global_load_dwordx2 v[38:39], v[36:37], off offset:64
	global_load_dwordx4 v[32:35], v[36:37], off offset:48
	s_movk_i32 s0, 0x36a6
	s_mov_b32 s1, 0xb93d
	s_mov_b32 s4, 0xbbad
	;; [unrolled: 1-line block ×3, first 2 shown]
	s_movk_i32 s6, 0x3abb
	s_movk_i32 s7, 0x3853
	;; [unrolled: 1-line block ×3, first 2 shown]
	s_mov_b32 s10, 0xb853
	s_mov_b32 s9, 0xbbeb
	;; [unrolled: 1-line block ×3, first 2 shown]
	s_waitcnt vmcnt(2)
	v_mul_f16_sdwa v36, v24, v28 dst_sel:DWORD dst_unused:UNUSED_PAD src0_sel:DWORD src1_sel:WORD_1
	s_waitcnt vmcnt(1)
	v_mul_f16_sdwa v37, v27, v39 dst_sel:DWORD dst_unused:UNUSED_PAD src0_sel:DWORD src1_sel:WORD_1
	v_mul_f16_sdwa v40, v9, v39 dst_sel:DWORD dst_unused:UNUSED_PAD src0_sel:DWORD src1_sel:WORD_1
	;; [unrolled: 1-line block ×5, first 2 shown]
	v_fma_f16 v10, v10, v28, v36
	v_fma_f16 v9, v9, v39, v37
	v_mul_f16_sdwa v44, v8, v38 dst_sel:DWORD dst_unused:UNUSED_PAD src0_sel:DWORD src1_sel:WORD_1
	v_mul_f16_sdwa v45, v11, v29 dst_sel:DWORD dst_unused:UNUSED_PAD src0_sel:DWORD src1_sel:WORD_1
	;; [unrolled: 1-line block ×3, first 2 shown]
	s_waitcnt vmcnt(0)
	v_mul_f16_sdwa v47, v20, v35 dst_sel:DWORD dst_unused:UNUSED_PAD src0_sel:DWORD src1_sel:WORD_1
	v_mul_f16_sdwa v49, v12, v30 dst_sel:DWORD dst_unused:UNUSED_PAD src0_sel:DWORD src1_sel:WORD_1
	v_fma_f16 v27, v27, v39, -v40
	v_fma_f16 v24, v24, v28, -v41
	v_fma_f16 v11, v11, v29, v42
	v_fma_f16 v8, v8, v38, v43
	v_sub_f16_e32 v28, v10, v9
	v_mul_f16_sdwa v48, v7, v35 dst_sel:DWORD dst_unused:UNUSED_PAD src0_sel:DWORD src1_sel:WORD_1
	v_mul_f16_sdwa v50, v23, v31 dst_sel:DWORD dst_unused:UNUSED_PAD src0_sel:DWORD src1_sel:WORD_1
	;; [unrolled: 1-line block ×6, first 2 shown]
	v_fma_f16 v19, v19, v38, -v44
	v_fma_f16 v25, v25, v29, -v45
	v_fma_f16 v12, v12, v30, v46
	v_fma_f16 v7, v7, v35, v47
	v_fma_f16 v26, v26, v30, -v49
	v_add_f16_e32 v29, v24, v27
	v_sub_f16_e32 v30, v11, v8
	v_mul_f16_e32 v45, 0xbb47, v28
	v_mul_f16_sdwa v52, v6, v34 dst_sel:DWORD dst_unused:UNUSED_PAD src0_sel:DWORD src1_sel:WORD_1
	v_mul_f16_sdwa v55, v21, v33 dst_sel:DWORD dst_unused:UNUSED_PAD src0_sel:DWORD src1_sel:WORD_1
	v_mul_f16_sdwa v56, v5, v33 dst_sel:DWORD dst_unused:UNUSED_PAD src0_sel:DWORD src1_sel:WORD_1
	v_fma_f16 v20, v20, v35, -v48
	v_fma_f16 v13, v13, v31, v50
	v_fma_f16 v6, v6, v34, v51
	v_fma_f16 v23, v23, v31, -v53
	v_fma_f16 v4, v4, v32, v54
	v_fma_f16 v18, v18, v32, -v57
	v_add_f16_e32 v31, v25, v19
	v_sub_f16_e32 v32, v12, v7
	v_sub_f16_e32 v39, v24, v27
	v_mul_f16_e32 v46, 0xba0c, v30
	v_fma_f16 v53, v29, s0, v45
	v_fma_f16 v22, v22, v34, -v52
	v_fma_f16 v5, v5, v33, v55
	v_fma_f16 v21, v21, v33, -v56
	v_add_f16_e32 v33, v26, v20
	v_sub_f16_e32 v34, v13, v6
	v_add_f16_e32 v38, v10, v9
	v_sub_f16_e32 v41, v25, v19
	v_mul_f16_e32 v47, 0x3482, v32
	v_mul_f16_e32 v50, 0xbb47, v39
	v_fma_f16 v54, v31, s1, v46
	v_add_f16_e32 v53, v17, v53
	v_add_f16_e32 v35, v23, v22
	v_sub_f16_e32 v36, v4, v5
	v_add_f16_e32 v40, v11, v8
	v_sub_f16_e32 v43, v26, v20
	v_mul_f16_e32 v48, 0x3beb, v34
	v_mul_f16_e32 v51, 0xba0c, v41
	v_fma_f16 v55, v33, s4, v47
	v_fma_f16 v58, v38, s0, -v50
	v_add_f16_e32 v53, v54, v53
	v_add_f16_e32 v37, v18, v21
	;; [unrolled: 1-line block ×3, first 2 shown]
	v_mul_f16_e32 v49, 0x3853, v36
	v_mul_f16_e32 v52, 0x3482, v43
	v_fma_f16 v56, v35, s5, v48
	v_fma_f16 v59, v40, s1, -v51
	v_add_f16_e32 v58, v16, v58
	v_add_f16_e32 v53, v55, v53
	v_sub_f16_e32 v55, v23, v22
	v_add_f16_e32 v44, v13, v6
	v_fma_f16 v57, v37, s6, v49
	v_fma_f16 v60, v42, s4, -v52
	v_add_f16_e32 v54, v59, v58
	v_add_f16_e32 v53, v56, v53
	v_mul_f16_e32 v56, 0x3beb, v55
	v_add_f16_e32 v54, v60, v54
	v_add_f16_e32 v53, v57, v53
	v_fma_f16 v57, v44, s5, -v56
	v_sub_f16_e32 v58, v18, v21
	v_add_f16_e32 v54, v57, v54
	v_add_f16_e32 v57, v4, v5
	v_mul_f16_e32 v59, 0x3853, v58
	v_fma_f16 v60, v57, s6, -v59
	v_add_f16_e32 v54, v60, v54
	v_mul_f16_e32 v60, 0xbbeb, v28
	v_fma_f16 v61, v29, s5, v60
	v_mul_f16_e32 v62, 0x3482, v30
	v_add_f16_e32 v61, v17, v61
	v_fma_f16 v63, v31, s4, v62
	v_add_f16_e32 v61, v63, v61
	v_mul_f16_e32 v63, 0x3b47, v32
	v_fma_f16 v64, v33, s0, v63
	v_add_f16_e32 v61, v64, v61
	v_mul_f16_e32 v64, 0xb853, v34
	;; [unrolled: 3-line block ×4, first 2 shown]
	v_fma_f16 v67, v38, s5, -v66
	v_mul_f16_e32 v68, 0x3482, v41
	v_add_f16_e32 v67, v16, v67
	v_fma_f16 v69, v40, s4, -v68
	v_add_f16_e32 v67, v69, v67
	v_mul_f16_e32 v69, 0x3b47, v43
	v_fma_f16 v70, v42, s0, -v69
	v_add_f16_e32 v67, v70, v67
	v_mul_f16_e32 v70, 0xb853, v55
	v_fma_f16 v71, v44, s6, -v70
	v_add_f16_e32 v67, v71, v67
	v_mul_f16_e32 v71, 0xba0c, v58
	v_fma_f16 v72, v57, s1, -v71
	v_add_f16_e32 v67, v72, v67
	v_mul_f16_e32 v72, 0xba0c, v28
	v_fma_f16 v73, v29, s1, v72
	v_mul_f16_e32 v74, 0x3beb, v30
	v_add_f16_e32 v73, v17, v73
	v_fma_f16 v75, v31, s5, v74
	v_add_f16_e32 v73, v75, v73
	v_mul_f16_e32 v75, 0xb853, v32
	v_fma_f16 v76, v33, s6, v75
	v_add_f16_e32 v73, v76, v73
	v_mul_f16_e32 v76, 0xb482, v34
	;; [unrolled: 3-line block ×4, first 2 shown]
	v_fma_f16 v79, v38, s1, -v78
	v_mul_f16_e32 v80, 0x3beb, v41
	v_add_f16_e32 v79, v16, v79
	v_fma_f16 v81, v40, s5, -v80
	v_add_f16_e32 v79, v81, v79
	v_mul_f16_e32 v81, 0xb853, v43
	v_fma_f16 v82, v42, s6, -v81
	v_add_f16_e32 v79, v82, v79
	v_mul_f16_e32 v82, 0xb482, v55
	v_fma_f16 v45, v29, s0, -v45
	v_fma_f16 v83, v44, s4, -v82
	v_add_f16_e32 v45, v17, v45
	v_fma_f16 v46, v31, s1, -v46
	v_add_f16_e32 v79, v83, v79
	v_mul_f16_e32 v83, 0x3b47, v58
	v_add_f16_e32 v45, v46, v45
	v_fma_f16 v46, v33, s4, -v47
	v_fma_f16 v84, v57, s0, -v83
	v_add_f16_e32 v45, v46, v45
	v_fma_f16 v46, v35, s5, -v48
	v_add_f16_e32 v79, v84, v79
	v_mul_f16_e32 v84, 0xb482, v28
	v_add_f16_e32 v45, v46, v45
	v_fma_f16 v46, v37, s6, -v49
	v_fma_f16 v85, v29, s4, v84
	v_mul_f16_e32 v86, 0x3853, v30
	v_add_f16_e32 v45, v46, v45
	v_fma_f16 v46, v38, s0, v50
	v_add_f16_e32 v85, v17, v85
	v_fma_f16 v87, v31, s6, v86
	;; [unrolled: 2-line block ×3, first 2 shown]
	v_add_f16_e32 v85, v87, v85
	v_mul_f16_e32 v87, 0xba0c, v32
	v_add_f16_e32 v46, v47, v46
	v_fma_f16 v47, v42, s4, v52
	v_add_f16_e32 v10, v16, v10
	v_fma_f16 v88, v33, s1, v87
	;; [unrolled: 2-line block ×3, first 2 shown]
	v_add_f16_e32 v10, v10, v11
	v_add_f16_e32 v85, v88, v85
	v_mul_f16_e32 v88, 0x3b47, v34
	v_fma_f16 v84, v29, s4, -v84
	v_fma_f16 v72, v29, s1, -v72
	;; [unrolled: 1-line block ×3, first 2 shown]
	v_add_f16_e32 v46, v47, v46
	v_fma_f16 v47, v57, s6, v59
	v_mul_f16_e32 v29, 0x3abb, v29
	v_add_f16_e32 v10, v10, v12
	v_fma_f16 v89, v35, s0, v88
	v_add_f16_e32 v84, v17, v84
	v_fma_f16 v86, v31, s6, -v86
	v_add_f16_e32 v72, v17, v72
	v_fma_f16 v74, v31, s5, -v74
	;; [unrolled: 2-line block ×3, first 2 shown]
	v_add_f16_e32 v46, v47, v46
	v_fma_f16 v47, v28, s7, v29
	v_mul_f16_e32 v31, 0x36a6, v31
	v_add_f16_e32 v10, v10, v13
	v_add_f16_e32 v85, v89, v85
	v_mul_f16_e32 v89, 0xbbeb, v36
	v_add_f16_e32 v84, v86, v84
	v_fma_f16 v86, v33, s1, -v87
	v_add_f16_e32 v72, v74, v72
	v_fma_f16 v74, v33, s6, -v75
	;; [unrolled: 2-line block ×3, first 2 shown]
	v_add_f16_e32 v47, v17, v47
	v_fma_f16 v48, v30, s8, v31
	s_movk_i32 s7, 0x3beb
	v_mul_f16_e32 v33, 0xb08e, v33
	v_add_f16_e32 v4, v10, v4
	v_fma_f16 v90, v37, s5, v89
	v_add_f16_e32 v84, v86, v84
	v_fma_f16 v86, v35, s0, -v88
	v_add_f16_e32 v72, v74, v72
	v_fma_f16 v74, v35, s4, -v76
	;; [unrolled: 2-line block ×3, first 2 shown]
	v_add_f16_e32 v47, v48, v47
	v_fma_f16 v48, v32, s7, v33
	v_mul_f16_e32 v35, 0xb93d, v35
	s_movk_i32 s7, 0x3a0c
	v_add_f16_e32 v4, v4, v5
	v_add_f16_e32 v5, v17, v24
	;; [unrolled: 1-line block ×3, first 2 shown]
	v_mul_f16_e32 v90, 0xb482, v39
	v_add_f16_e32 v84, v86, v84
	v_fma_f16 v86, v37, s5, -v89
	v_add_f16_e32 v72, v74, v72
	v_fma_f16 v74, v37, s0, -v77
	;; [unrolled: 2-line block ×3, first 2 shown]
	v_add_f16_e32 v47, v48, v47
	v_fma_f16 v48, v34, s7, v35
	s_movk_i32 s7, 0x3482
	v_mul_f16_e32 v37, 0xbbad, v37
	v_add_f16_e32 v5, v5, v25
	v_fma_f16 v91, v38, s4, -v90
	v_mul_f16_e32 v92, 0x3853, v41
	v_add_f16_e32 v47, v48, v47
	v_fma_f16 v48, v36, s7, v37
	v_mul_f16_e32 v39, 0xb853, v39
	v_add_f16_e32 v5, v5, v26
	v_add_f16_e32 v91, v16, v91
	v_fma_f16 v93, v40, s6, -v92
	v_add_f16_e32 v47, v48, v47
	v_fma_f16 v48, v38, s6, v39
	v_mul_f16_e32 v41, 0xbb47, v41
	v_add_f16_e32 v5, v5, v23
	v_add_f16_e32 v91, v93, v91
	v_mul_f16_e32 v93, 0xba0c, v43
	v_add_f16_e32 v48, v16, v48
	v_fma_f16 v49, v40, s0, v41
	v_mul_f16_e32 v43, 0xbbeb, v43
	s_mov_b32 s7, 0xbb47
	v_add_f16_e32 v4, v4, v6
	v_add_f16_e32 v5, v5, v18
	v_fma_f16 v6, v28, s10, v29
	v_add_f16_e32 v48, v49, v48
	v_fma_f16 v49, v42, s5, v43
	v_add_f16_e32 v4, v4, v7
	v_add_f16_e32 v5, v5, v21
	;; [unrolled: 1-line block ×3, first 2 shown]
	v_fma_f16 v7, v30, s7, v31
	v_add_f16_e32 v72, v74, v72
	v_fma_f16 v74, v38, s1, v78
	v_add_f16_e32 v60, v62, v60
	;; [unrolled: 2-line block ×3, first 2 shown]
	v_mul_f16_e32 v49, 0xba0c, v55
	s_mov_b32 s8, 0xba0c
	v_add_f16_e32 v5, v5, v22
	v_add_f16_e32 v6, v7, v6
	v_fma_f16 v7, v32, s9, v33
	v_fma_f16 v94, v42, s1, -v93
	v_add_f16_e32 v84, v86, v84
	v_fma_f16 v86, v38, s4, v90
	v_add_f16_e32 v74, v16, v74
	v_fma_f16 v75, v40, s5, v80
	;; [unrolled: 2-line block ×3, first 2 shown]
	v_fma_f16 v50, v44, s1, v49
	v_add_f16_e32 v5, v5, v20
	v_add_f16_e32 v6, v7, v6
	v_fma_f16 v7, v34, s8, v35
	v_add_f16_e32 v91, v94, v91
	v_mul_f16_e32 v94, 0x3b47, v55
	v_add_f16_e32 v86, v16, v86
	v_fma_f16 v87, v40, s6, v92
	v_add_f16_e32 v74, v75, v74
	v_fma_f16 v75, v42, s6, v81
	;; [unrolled: 2-line block ×3, first 2 shown]
	v_add_f16_e32 v48, v50, v48
	v_mul_f16_e32 v50, 0xb482, v58
	v_add_f16_e32 v4, v4, v8
	v_add_f16_e32 v5, v5, v19
	;; [unrolled: 1-line block ×3, first 2 shown]
	v_fma_f16 v7, v36, s11, v37
	v_fma_f16 v95, v44, s0, -v94
	v_add_f16_e32 v86, v87, v86
	v_fma_f16 v87, v42, s1, v93
	v_add_f16_e32 v74, v75, v74
	v_fma_f16 v75, v44, s4, v82
	v_add_f16_e32 v62, v63, v62
	v_fma_f16 v63, v44, s6, v70
	v_fma_f16 v51, v57, s4, v50
	v_add_f16_e32 v4, v4, v9
	v_add_f16_e32 v5, v5, v27
	;; [unrolled: 1-line block ×3, first 2 shown]
	v_fma_f16 v7, v38, s6, -v39
	v_add_f16_e32 v91, v95, v91
	v_mul_f16_e32 v95, 0xbbeb, v58
	v_add_f16_e32 v86, v87, v86
	v_fma_f16 v87, v44, s0, v94
	v_add_f16_e32 v74, v75, v74
	v_fma_f16 v75, v57, s0, v83
	;; [unrolled: 2-line block ×3, first 2 shown]
	v_add_f16_e32 v48, v51, v48
	v_add_f16_e32 v7, v16, v7
	v_fma_f16 v8, v40, s0, -v41
	v_pack_b32_f16 v4, v4, v5
	v_fma_f16 v96, v57, s5, -v95
	v_add_f16_e32 v86, v87, v86
	v_fma_f16 v87, v57, s5, v95
	v_add_f16_e32 v74, v75, v74
	v_add_f16_e32 v62, v63, v62
	;; [unrolled: 1-line block ×3, first 2 shown]
	v_fma_f16 v8, v42, s5, -v43
	ds_write_b32 v15, v4
	v_pack_b32_f16 v4, v48, v47
	v_pack_b32_f16 v5, v46, v45
	v_add_f16_e32 v91, v96, v91
	v_add_f16_e32 v86, v87, v86
	;; [unrolled: 1-line block ×3, first 2 shown]
	v_fma_f16 v8, v44, s1, -v49
	ds_write2_b32 v3, v4, v5 offset0:10 offset1:20
	v_pack_b32_f16 v4, v62, v60
	v_pack_b32_f16 v5, v74, v72
	v_add_f16_e32 v7, v8, v7
	v_fma_f16 v8, v57, s4, -v50
	ds_write2_b32 v3, v4, v5 offset0:30 offset1:40
	v_pack_b32_f16 v4, v86, v84
	v_pack_b32_f16 v5, v91, v85
	v_add_f16_e32 v7, v8, v7
	ds_write2_b32 v3, v4, v5 offset0:50 offset1:60
	v_pack_b32_f16 v4, v79, v73
	v_pack_b32_f16 v5, v67, v61
	ds_write2_b32 v3, v4, v5 offset0:70 offset1:80
	v_pack_b32_f16 v4, v54, v53
	v_pack_b32_f16 v5, v7, v6
	ds_write2_b32 v3, v4, v5 offset0:90 offset1:100
.LBB0_20:
	s_or_b64 exec, exec, s[2:3]
	s_waitcnt lgkmcnt(0)
	s_barrier
	s_and_saveexec_b64 s[0:1], vcc
	s_cbranch_execz .LBB0_22
; %bb.21:
	v_lshl_add_u32 v10, v2, 2, v14
	ds_read2_b32 v[4:5], v10 offset1:11
	v_mov_b32_e32 v3, 0
	v_lshl_add_u64 v[8:9], v[2:3], 2, v[0:1]
	v_add_u32_e32 v6, 11, v2
	v_mov_b32_e32 v7, v3
	s_waitcnt lgkmcnt(0)
	global_store_dword v[8:9], v4, off
	ds_read2_b32 v[8:9], v10 offset0:22 offset1:33
	v_lshl_add_u64 v[6:7], v[6:7], 2, v[0:1]
	global_store_dword v[6:7], v5, off
	v_add_u32_e32 v4, 22, v2
	v_mov_b32_e32 v5, v3
	v_lshl_add_u64 v[4:5], v[4:5], 2, v[0:1]
	ds_read2_b32 v[6:7], v10 offset0:44 offset1:55
	s_waitcnt lgkmcnt(1)
	global_store_dword v[4:5], v8, off
	v_add_u32_e32 v4, 33, v2
	v_mov_b32_e32 v5, v3
	v_lshl_add_u64 v[4:5], v[4:5], 2, v[0:1]
	global_store_dword v[4:5], v9, off
	v_add_u32_e32 v4, 44, v2
	v_mov_b32_e32 v5, v3
	v_lshl_add_u64 v[4:5], v[4:5], 2, v[0:1]
	ds_read2_b32 v[8:9], v10 offset0:66 offset1:77
	s_waitcnt lgkmcnt(1)
	global_store_dword v[4:5], v6, off
	v_add_u32_e32 v4, 55, v2
	v_mov_b32_e32 v5, v3
	;; [unrolled: 10-line block ×3, first 2 shown]
	v_lshl_add_u64 v[4:5], v[4:5], 2, v[0:1]
	global_store_dword v[4:5], v9, off
	v_add_u32_e32 v4, 0x58, v2
	v_mov_b32_e32 v5, v3
	v_add_u32_e32 v2, 0x63, v2
	v_lshl_add_u64 v[4:5], v[4:5], 2, v[0:1]
	v_lshl_add_u64 v[0:1], v[2:3], 2, v[0:1]
	s_waitcnt lgkmcnt(0)
	global_store_dword v[4:5], v6, off
	global_store_dword v[0:1], v7, off
.LBB0_22:
	s_endpgm
	.section	.rodata,"a",@progbits
	.p2align	6, 0x0
	.amdhsa_kernel fft_rtc_back_len110_factors_2_5_11_wgs_198_tpt_11_half_ip_CI_unitstride_sbrr_C2R_dirReg
		.amdhsa_group_segment_fixed_size 0
		.amdhsa_private_segment_fixed_size 0
		.amdhsa_kernarg_size 88
		.amdhsa_user_sgpr_count 2
		.amdhsa_user_sgpr_dispatch_ptr 0
		.amdhsa_user_sgpr_queue_ptr 0
		.amdhsa_user_sgpr_kernarg_segment_ptr 1
		.amdhsa_user_sgpr_dispatch_id 0
		.amdhsa_user_sgpr_kernarg_preload_length 0
		.amdhsa_user_sgpr_kernarg_preload_offset 0
		.amdhsa_user_sgpr_private_segment_size 0
		.amdhsa_uses_dynamic_stack 0
		.amdhsa_enable_private_segment 0
		.amdhsa_system_sgpr_workgroup_id_x 1
		.amdhsa_system_sgpr_workgroup_id_y 0
		.amdhsa_system_sgpr_workgroup_id_z 0
		.amdhsa_system_sgpr_workgroup_info 0
		.amdhsa_system_vgpr_workitem_id 0
		.amdhsa_next_free_vgpr 97
		.amdhsa_next_free_sgpr 22
		.amdhsa_accum_offset 100
		.amdhsa_reserve_vcc 1
		.amdhsa_float_round_mode_32 0
		.amdhsa_float_round_mode_16_64 0
		.amdhsa_float_denorm_mode_32 3
		.amdhsa_float_denorm_mode_16_64 3
		.amdhsa_dx10_clamp 1
		.amdhsa_ieee_mode 1
		.amdhsa_fp16_overflow 0
		.amdhsa_tg_split 0
		.amdhsa_exception_fp_ieee_invalid_op 0
		.amdhsa_exception_fp_denorm_src 0
		.amdhsa_exception_fp_ieee_div_zero 0
		.amdhsa_exception_fp_ieee_overflow 0
		.amdhsa_exception_fp_ieee_underflow 0
		.amdhsa_exception_fp_ieee_inexact 0
		.amdhsa_exception_int_div_zero 0
	.end_amdhsa_kernel
	.text
.Lfunc_end0:
	.size	fft_rtc_back_len110_factors_2_5_11_wgs_198_tpt_11_half_ip_CI_unitstride_sbrr_C2R_dirReg, .Lfunc_end0-fft_rtc_back_len110_factors_2_5_11_wgs_198_tpt_11_half_ip_CI_unitstride_sbrr_C2R_dirReg
                                        ; -- End function
	.section	.AMDGPU.csdata,"",@progbits
; Kernel info:
; codeLenInByte = 6896
; NumSgprs: 28
; NumVgprs: 97
; NumAgprs: 0
; TotalNumVgprs: 97
; ScratchSize: 0
; MemoryBound: 0
; FloatMode: 240
; IeeeMode: 1
; LDSByteSize: 0 bytes/workgroup (compile time only)
; SGPRBlocks: 3
; VGPRBlocks: 12
; NumSGPRsForWavesPerEU: 28
; NumVGPRsForWavesPerEU: 97
; AccumOffset: 100
; Occupancy: 4
; WaveLimiterHint : 1
; COMPUTE_PGM_RSRC2:SCRATCH_EN: 0
; COMPUTE_PGM_RSRC2:USER_SGPR: 2
; COMPUTE_PGM_RSRC2:TRAP_HANDLER: 0
; COMPUTE_PGM_RSRC2:TGID_X_EN: 1
; COMPUTE_PGM_RSRC2:TGID_Y_EN: 0
; COMPUTE_PGM_RSRC2:TGID_Z_EN: 0
; COMPUTE_PGM_RSRC2:TIDIG_COMP_CNT: 0
; COMPUTE_PGM_RSRC3_GFX90A:ACCUM_OFFSET: 24
; COMPUTE_PGM_RSRC3_GFX90A:TG_SPLIT: 0
	.text
	.p2alignl 6, 3212836864
	.fill 256, 4, 3212836864
	.type	__hip_cuid_c4e4da704292d343,@object ; @__hip_cuid_c4e4da704292d343
	.section	.bss,"aw",@nobits
	.globl	__hip_cuid_c4e4da704292d343
__hip_cuid_c4e4da704292d343:
	.byte	0                               ; 0x0
	.size	__hip_cuid_c4e4da704292d343, 1

	.ident	"AMD clang version 19.0.0git (https://github.com/RadeonOpenCompute/llvm-project roc-6.4.0 25133 c7fe45cf4b819c5991fe208aaa96edf142730f1d)"
	.section	".note.GNU-stack","",@progbits
	.addrsig
	.addrsig_sym __hip_cuid_c4e4da704292d343
	.amdgpu_metadata
---
amdhsa.kernels:
  - .agpr_count:     0
    .args:
      - .actual_access:  read_only
        .address_space:  global
        .offset:         0
        .size:           8
        .value_kind:     global_buffer
      - .offset:         8
        .size:           8
        .value_kind:     by_value
      - .actual_access:  read_only
        .address_space:  global
        .offset:         16
        .size:           8
        .value_kind:     global_buffer
      - .actual_access:  read_only
        .address_space:  global
        .offset:         24
        .size:           8
        .value_kind:     global_buffer
      - .offset:         32
        .size:           8
        .value_kind:     by_value
      - .actual_access:  read_only
        .address_space:  global
        .offset:         40
        .size:           8
        .value_kind:     global_buffer
      - .actual_access:  read_only
        .address_space:  global
        .offset:         48
        .size:           8
        .value_kind:     global_buffer
      - .offset:         56
        .size:           4
        .value_kind:     by_value
      - .actual_access:  read_only
        .address_space:  global
        .offset:         64
        .size:           8
        .value_kind:     global_buffer
      - .actual_access:  read_only
        .address_space:  global
        .offset:         72
        .size:           8
        .value_kind:     global_buffer
      - .address_space:  global
        .offset:         80
        .size:           8
        .value_kind:     global_buffer
    .group_segment_fixed_size: 0
    .kernarg_segment_align: 8
    .kernarg_segment_size: 88
    .language:       OpenCL C
    .language_version:
      - 2
      - 0
    .max_flat_workgroup_size: 198
    .name:           fft_rtc_back_len110_factors_2_5_11_wgs_198_tpt_11_half_ip_CI_unitstride_sbrr_C2R_dirReg
    .private_segment_fixed_size: 0
    .sgpr_count:     28
    .sgpr_spill_count: 0
    .symbol:         fft_rtc_back_len110_factors_2_5_11_wgs_198_tpt_11_half_ip_CI_unitstride_sbrr_C2R_dirReg.kd
    .uniform_work_group_size: 1
    .uses_dynamic_stack: false
    .vgpr_count:     97
    .vgpr_spill_count: 0
    .wavefront_size: 64
amdhsa.target:   amdgcn-amd-amdhsa--gfx950
amdhsa.version:
  - 1
  - 2
...

	.end_amdgpu_metadata
